;; amdgpu-corpus repo=ROCm/rocFFT kind=compiled arch=gfx950 opt=O3
	.text
	.amdgcn_target "amdgcn-amd-amdhsa--gfx950"
	.amdhsa_code_object_version 6
	.protected	bluestein_single_fwd_len75_dim1_dp_op_CI_CI ; -- Begin function bluestein_single_fwd_len75_dim1_dp_op_CI_CI
	.globl	bluestein_single_fwd_len75_dim1_dp_op_CI_CI
	.p2align	8
	.type	bluestein_single_fwd_len75_dim1_dp_op_CI_CI,@function
bluestein_single_fwd_len75_dim1_dp_op_CI_CI: ; @bluestein_single_fwd_len75_dim1_dp_op_CI_CI
; %bb.0:
	s_load_dwordx4 s[8:11], s[0:1], 0x28
	v_mul_u32_u24_e32 v1, 0xa3e, v0
	v_lshrrev_b32_e32 v2, 16, v1
	v_mad_u64_u32 v[60:61], s[2:3], s2, 10, v[2:3]
	v_mov_b32_e32 v61, 0
	s_waitcnt lgkmcnt(0)
	v_cmp_gt_u64_e32 vcc, s[8:9], v[60:61]
	s_and_saveexec_b64 s[2:3], vcc
	s_cbranch_execz .LBB0_23
; %bb.1:
	v_mul_lo_u16_e32 v1, 25, v2
	s_mov_b32 s2, 0xcccccccd
	v_sub_u16_e32 v61, v0, v1
	v_mul_hi_u32 v0, v60, s2
	s_load_dwordx2 s[12:13], s[0:1], 0x0
	s_load_dwordx2 s[8:9], s[0:1], 0x38
	v_lshrrev_b32_e32 v0, 3, v0
	v_mul_lo_u32 v0, v0, 10
	v_sub_u32_e32 v0, v60, v0
	v_mul_u32_u24_e32 v70, 0x4b, v0
	v_cmp_gt_u16_e32 vcc, 15, v61
	v_lshlrev_b32_e32 v71, 4, v61
	v_lshlrev_b32_e32 v72, 4, v70
	s_and_saveexec_b64 s[2:3], vcc
	s_cbranch_execz .LBB0_3
; %bb.2:
	s_load_dwordx2 s[4:5], s[0:1], 0x18
	v_mov_b32_e32 v0, s10
	v_mov_b32_e32 v1, s11
	;; [unrolled: 1-line block ×3, first 2 shown]
	v_lshl_add_u32 v44, v61, 4, v72
	s_waitcnt lgkmcnt(0)
	s_load_dwordx4 s[4:7], s[4:5], 0x0
	v_add_u32_e32 v45, v72, v71
	s_waitcnt lgkmcnt(0)
	v_mad_u64_u32 v[2:3], s[10:11], s6, v60, 0
	v_mad_u64_u32 v[4:5], s[10:11], s4, v61, 0
	v_mov_b32_e32 v6, v3
	v_mov_b32_e32 v8, v5
	v_mad_u64_u32 v[6:7], s[6:7], s7, v60, v[6:7]
	v_mov_b32_e32 v3, v6
	v_mad_u64_u32 v[6:7], s[6:7], s5, v61, v[8:9]
	v_mov_b32_e32 v5, v6
	v_lshl_add_u64 v[0:1], v[2:3], 4, v[0:1]
	v_lshl_add_u64 v[8:9], v[4:5], 4, v[0:1]
	v_mad_u64_u32 v[16:17], s[6:7], s4, v34, v[8:9]
	s_mul_i32 s10, s5, 0xf0
	global_load_dwordx4 v[0:3], v[8:9], off
	global_load_dwordx4 v[4:7], v71, s[12:13]
	v_add_u32_e32 v17, s10, v17
	global_load_dwordx4 v[8:11], v[16:17], off
	global_load_dwordx4 v[12:15], v71, s[12:13] offset:240
	v_mad_u64_u32 v[24:25], s[6:7], s4, v34, v[16:17]
	v_add_u32_e32 v25, s10, v25
	global_load_dwordx4 v[16:19], v71, s[12:13] offset:480
	global_load_dwordx4 v[20:23], v[24:25], off
	v_mad_u64_u32 v[32:33], s[6:7], s4, v34, v[24:25]
	v_add_u32_e32 v33, s10, v33
	global_load_dwordx4 v[24:27], v[32:33], off
	global_load_dwordx4 v[28:31], v71, s[12:13] offset:720
	v_mad_u64_u32 v[40:41], s[4:5], s4, v34, v[32:33]
	v_add_u32_e32 v41, s10, v41
	global_load_dwordx4 v[32:35], v71, s[12:13] offset:960
	global_load_dwordx4 v[36:39], v[40:41], off
	s_waitcnt vmcnt(8)
	v_mul_f64 v[40:41], v[2:3], v[6:7]
	v_mul_f64 v[6:7], v[0:1], v[6:7]
	v_fmac_f64_e32 v[40:41], v[0:1], v[4:5]
	v_fma_f64 v[42:43], v[2:3], v[4:5], -v[6:7]
	s_waitcnt vmcnt(6)
	v_mul_f64 v[0:1], v[10:11], v[14:15]
	v_mul_f64 v[2:3], v[8:9], v[14:15]
	v_fmac_f64_e32 v[0:1], v[8:9], v[12:13]
	v_fma_f64 v[2:3], v[10:11], v[12:13], -v[2:3]
	ds_write_b128 v44, v[40:43]
	ds_write_b128 v45, v[0:3] offset:240
	s_waitcnt vmcnt(4)
	v_mul_f64 v[0:1], v[22:23], v[18:19]
	v_mul_f64 v[2:3], v[20:21], v[18:19]
	v_fmac_f64_e32 v[0:1], v[20:21], v[16:17]
	v_fma_f64 v[2:3], v[22:23], v[16:17], -v[2:3]
	ds_write_b128 v45, v[0:3] offset:480
	s_waitcnt vmcnt(2)
	v_mul_f64 v[0:1], v[26:27], v[30:31]
	v_mul_f64 v[2:3], v[24:25], v[30:31]
	v_fmac_f64_e32 v[0:1], v[24:25], v[28:29]
	v_fma_f64 v[2:3], v[26:27], v[28:29], -v[2:3]
	;; [unrolled: 6-line block ×3, first 2 shown]
	ds_write_b128 v45, v[0:3] offset:960
.LBB0_3:
	s_or_b64 exec, exec, s[2:3]
	s_waitcnt lgkmcnt(0)
	s_barrier
	s_waitcnt lgkmcnt(0)
                                        ; implicit-def: $vgpr20_vgpr21
                                        ; implicit-def: $vgpr0_vgpr1
                                        ; implicit-def: $vgpr4_vgpr5
                                        ; implicit-def: $vgpr8_vgpr9
                                        ; implicit-def: $vgpr12_vgpr13
	s_and_saveexec_b64 s[2:3], vcc
	s_cbranch_execz .LBB0_5
; %bb.4:
	v_lshl_add_u32 v12, v70, 4, v71
	ds_read_b128 v[20:23], v12
	ds_read_b128 v[0:3], v12 offset:240
	ds_read_b128 v[4:7], v12 offset:480
	;; [unrolled: 1-line block ×4, first 2 shown]
.LBB0_5:
	s_or_b64 exec, exec, s[2:3]
	s_waitcnt lgkmcnt(1)
	v_add_f64 v[18:19], v[4:5], v[8:9]
	s_mov_b32 s2, 0x134454ff
	v_fma_f64 v[28:29], -0.5, v[18:19], v[20:21]
	s_waitcnt lgkmcnt(0)
	v_add_f64 v[18:19], v[2:3], -v[14:15]
	s_mov_b32 s3, 0x3fee6f0e
	s_mov_b32 s6, 0x4755a5e
	;; [unrolled: 1-line block ×4, first 2 shown]
	v_fma_f64 v[24:25], s[2:3], v[18:19], v[28:29]
	v_add_f64 v[26:27], v[6:7], -v[10:11]
	s_mov_b32 s7, 0x3fe2cf23
	v_add_f64 v[30:31], v[0:1], -v[4:5]
	v_add_f64 v[32:33], v[12:13], -v[8:9]
	s_mov_b32 s10, 0x372fe950
	v_fmac_f64_e32 v[28:29], s[14:15], v[18:19]
	s_mov_b32 s17, 0xbfe2cf23
	s_mov_b32 s16, s6
	v_fmac_f64_e32 v[24:25], s[6:7], v[26:27]
	v_add_f64 v[30:31], v[30:31], v[32:33]
	s_mov_b32 s11, 0x3fd3c6ef
	v_fmac_f64_e32 v[28:29], s[16:17], v[26:27]
	v_fmac_f64_e32 v[24:25], s[10:11], v[30:31]
	;; [unrolled: 1-line block ×3, first 2 shown]
	v_add_f64 v[30:31], v[0:1], v[12:13]
	v_add_f64 v[16:17], v[20:21], v[0:1]
	v_fmac_f64_e32 v[20:21], -0.5, v[30:31]
	v_fma_f64 v[32:33], s[14:15], v[26:27], v[20:21]
	v_add_f64 v[30:31], v[4:5], -v[0:1]
	v_add_f64 v[34:35], v[8:9], -v[12:13]
	v_fmac_f64_e32 v[20:21], s[2:3], v[26:27]
	v_add_f64 v[16:17], v[16:17], v[4:5]
	v_fmac_f64_e32 v[32:33], s[6:7], v[18:19]
	v_add_f64 v[30:31], v[30:31], v[34:35]
	;; [unrolled: 2-line block ×3, first 2 shown]
	v_add_f64 v[16:17], v[16:17], v[8:9]
	v_fmac_f64_e32 v[32:33], s[10:11], v[30:31]
	v_fmac_f64_e32 v[20:21], s[10:11], v[30:31]
	v_fma_f64 v[30:31], -0.5, v[26:27], v[22:23]
	v_add_f64 v[0:1], v[0:1], -v[12:13]
	v_add_f64 v[16:17], v[16:17], v[12:13]
	v_fma_f64 v[26:27], s[14:15], v[0:1], v[30:31]
	v_add_f64 v[4:5], v[4:5], -v[8:9]
	v_add_f64 v[8:9], v[2:3], -v[6:7]
	;; [unrolled: 1-line block ×3, first 2 shown]
	v_fmac_f64_e32 v[30:31], s[2:3], v[0:1]
	v_fmac_f64_e32 v[26:27], s[16:17], v[4:5]
	v_add_f64 v[8:9], v[8:9], v[12:13]
	v_fmac_f64_e32 v[30:31], s[6:7], v[4:5]
	s_load_dwordx2 s[4:5], s[0:1], 0x8
	v_fmac_f64_e32 v[26:27], s[10:11], v[8:9]
	v_fmac_f64_e32 v[30:31], s[10:11], v[8:9]
	v_add_f64 v[8:9], v[2:3], v[14:15]
	v_add_f64 v[18:19], v[22:23], v[2:3]
	v_fmac_f64_e32 v[22:23], -0.5, v[8:9]
	v_add_f64 v[18:19], v[18:19], v[6:7]
	v_fma_f64 v[34:35], s[2:3], v[4:5], v[22:23]
	v_add_f64 v[2:3], v[6:7], -v[2:3]
	v_add_f64 v[6:7], v[10:11], -v[14:15]
	v_fmac_f64_e32 v[22:23], s[14:15], v[4:5]
	v_add_f64 v[18:19], v[18:19], v[10:11]
	v_fmac_f64_e32 v[34:35], s[16:17], v[0:1]
	v_add_f64 v[2:3], v[2:3], v[6:7]
	v_fmac_f64_e32 v[22:23], s[6:7], v[0:1]
	v_add_f64 v[18:19], v[18:19], v[14:15]
	v_fmac_f64_e32 v[34:35], s[10:11], v[2:3]
	v_fmac_f64_e32 v[22:23], s[10:11], v[2:3]
	v_mul_lo_u16_e32 v75, 5, v61
	s_waitcnt lgkmcnt(0)
	s_barrier
	s_and_saveexec_b64 s[2:3], vcc
	s_cbranch_execz .LBB0_7
; %bb.6:
	v_add_lshl_u32 v0, v70, v75, 4
	ds_write_b128 v0, v[16:19]
	ds_write_b128 v0, v[24:27] offset:16
	ds_write_b128 v0, v[32:35] offset:32
	;; [unrolled: 1-line block ×4, first 2 shown]
.LBB0_7:
	s_or_b64 exec, exec, s[2:3]
	s_load_dwordx2 s[0:1], s[0:1], 0x20
	v_add_lshl_u32 v73, v70, v61, 4
	s_waitcnt lgkmcnt(0)
	s_barrier
	s_and_saveexec_b64 s[2:3], vcc
	s_cbranch_execz .LBB0_9
; %bb.8:
	ds_read_b128 v[16:19], v73
	ds_read_b128 v[24:27], v73 offset:240
	ds_read_b128 v[32:35], v73 offset:480
	ds_read_b128 v[20:23], v73 offset:720
	ds_read_b128 v[28:31], v73 offset:960
.LBB0_9:
	s_or_b64 exec, exec, s[2:3]
	s_movk_i32 s2, 0xcd
	v_mul_lo_u16_sdwa v0, v61, s2 dst_sel:DWORD dst_unused:UNUSED_PAD src0_sel:BYTE_0 src1_sel:DWORD
	v_lshrrev_b16_e32 v36, 10, v0
	v_mul_lo_u16_e32 v0, 5, v36
	v_sub_u16_e32 v37, v61, v0
	v_lshlrev_b16_e32 v0, 2, v37
	v_and_b32_e32 v0, 0xfc, v0
	v_lshlrev_b32_e32 v38, 4, v0
	global_load_dwordx4 v[4:7], v38, s[4:5]
	global_load_dwordx4 v[12:15], v38, s[4:5] offset:16
	global_load_dwordx4 v[8:11], v38, s[4:5] offset:32
	;; [unrolled: 1-line block ×3, first 2 shown]
	v_mad_legacy_u16 v74, v36, 25, v37
	s_mov_b32 s2, 0x134454ff
	s_mov_b32 s3, 0x3fee6f0e
	;; [unrolled: 1-line block ×4, first 2 shown]
	s_waitcnt lgkmcnt(0)
	s_barrier
	s_waitcnt vmcnt(3)
	v_mul_f64 v[36:37], v[26:27], v[6:7]
	v_mul_f64 v[38:39], v[24:25], v[6:7]
	s_waitcnt vmcnt(2)
	v_mul_f64 v[46:47], v[34:35], v[14:15]
	v_mul_f64 v[40:41], v[32:33], v[14:15]
	;; [unrolled: 3-line block ×4, first 2 shown]
	v_fma_f64 v[36:37], v[24:25], v[4:5], -v[36:37]
	v_fmac_f64_e32 v[38:39], v[26:27], v[4:5]
	v_fma_f64 v[32:33], v[32:33], v[12:13], -v[46:47]
	v_fmac_f64_e32 v[40:41], v[34:35], v[12:13]
	;; [unrolled: 2-line block ×4, first 2 shown]
	v_add_f64 v[24:25], v[32:33], v[20:21]
	v_add_f64 v[30:31], v[36:37], v[22:23]
	v_add_f64 v[34:35], v[32:33], -v[36:37]
	v_add_f64 v[50:51], v[20:21], -v[22:23]
	v_add_f64 v[52:53], v[40:41], v[42:43]
	v_add_f64 v[56:57], v[38:39], -v[40:41]
	v_add_f64 v[58:59], v[44:45], -v[42:43]
	;; [unrolled: 3-line block ×3, first 2 shown]
	v_add_f64 v[28:29], v[22:23], -v[20:21]
	v_add_f64 v[48:49], v[36:37], -v[22:23]
	;; [unrolled: 1-line block ×4, first 2 shown]
	v_add_f64 v[64:65], v[34:35], v[50:51]
	v_add_f64 v[58:59], v[56:57], v[58:59]
	v_fma_f64 v[34:35], -0.5, v[24:25], v[16:17]
	v_fma_f64 v[50:51], -0.5, v[30:31], v[16:17]
	;; [unrolled: 1-line block ×4, first 2 shown]
	v_add_f64 v[76:77], v[40:41], -v[38:39]
	v_add_f64 v[78:79], v[42:43], -v[44:45]
	v_add_f64 v[68:69], v[26:27], v[28:29]
	v_fma_f64 v[28:29], s[14:15], v[46:47], v[34:35]
	v_fma_f64 v[30:31], s[2:3], v[48:49], v[52:53]
	;; [unrolled: 1-line block ×4, first 2 shown]
	v_add_f64 v[66:67], v[76:77], v[78:79]
	v_fmac_f64_e32 v[28:29], s[16:17], v[62:63]
	v_fmac_f64_e32 v[24:25], s[16:17], v[46:47]
	;; [unrolled: 1-line block ×8, first 2 shown]
	s_and_saveexec_b64 s[14:15], vcc
	s_cbranch_execz .LBB0_11
; %bb.10:
	v_mul_f64 v[76:77], v[46:47], s[2:3]
	v_mul_f64 v[80:81], v[46:47], s[6:7]
	;; [unrolled: 1-line block ×3, first 2 shown]
	v_add_f64 v[18:19], v[18:19], v[38:39]
	v_add_f64 v[16:17], v[16:17], v[36:37]
	v_mul_f64 v[78:79], v[62:63], s[6:7]
	v_mul_f64 v[62:63], v[62:63], s[2:3]
	;; [unrolled: 1-line block ×4, first 2 shown]
	v_add_f64 v[46:47], v[46:47], v[56:57]
	v_add_f64 v[18:19], v[18:19], v[40:41]
	;; [unrolled: 1-line block ×3, first 2 shown]
	v_mul_f64 v[84:85], v[54:55], s[6:7]
	v_add_f64 v[46:47], v[46:47], -v[48:49]
	v_add_f64 v[48:49], v[52:53], -v[82:83]
	v_add_f64 v[18:19], v[18:19], v[42:43]
	v_add_f64 v[38:39], v[50:51], -v[62:63]
	v_add_f64 v[34:35], v[34:35], v[76:77]
	v_add_f64 v[16:17], v[16:17], v[20:21]
	v_and_b32_e32 v20, 0xff, v74
	v_mul_f64 v[68:69], v[68:69], s[10:11]
	v_mul_f64 v[64:65], v[64:65], s[10:11]
	v_mul_f64 v[58:59], v[58:59], s[10:11]
	v_mul_f64 v[54:55], v[66:67], s[10:11]
	v_add_f64 v[48:49], v[48:49], -v[84:85]
	v_add_f64 v[18:19], v[18:19], v[44:45]
	v_add_f64 v[38:39], v[80:81], v[38:39]
	;; [unrolled: 1-line block ×4, first 2 shown]
	v_add_lshl_u32 v20, v70, v20, 4
	v_add_f64 v[46:47], v[54:55], v[46:47]
	v_add_f64 v[52:53], v[58:59], v[48:49]
	;; [unrolled: 1-line block ×4, first 2 shown]
	ds_write_b128 v20, v[16:19]
	ds_write_b128 v20, v[50:53] offset:80
	ds_write_b128 v20, v[44:47] offset:160
	;; [unrolled: 1-line block ×4, first 2 shown]
.LBB0_11:
	s_or_b64 exec, exec, s[14:15]
	v_lshlrev_b32_e32 v32, 5, v61
	s_load_dwordx4 s[0:3], s[0:1], 0x0
	s_waitcnt lgkmcnt(0)
	s_barrier
	global_load_dwordx4 v[20:23], v32, s[4:5] offset:320
	global_load_dwordx4 v[16:19], v32, s[4:5] offset:336
	ds_read_b128 v[36:39], v73
	ds_read_b128 v[32:35], v73 offset:400
	ds_read_b128 v[40:43], v73 offset:800
	s_mov_b32 s4, 0xe8584caa
	s_mov_b32 s5, 0x3febb67a
	s_mov_b32 s7, 0xbfebb67a
	s_mov_b32 s6, s4
	v_lshl_add_u32 v62, v61, 4, v72
	s_waitcnt vmcnt(1) lgkmcnt(1)
	v_mul_f64 v[44:45], v[34:35], v[22:23]
	v_mul_f64 v[46:47], v[32:33], v[22:23]
	s_waitcnt vmcnt(0) lgkmcnt(0)
	v_mul_f64 v[48:49], v[42:43], v[18:19]
	v_mul_f64 v[50:51], v[40:41], v[18:19]
	v_fma_f64 v[32:33], v[32:33], v[20:21], -v[44:45]
	v_fmac_f64_e32 v[46:47], v[34:35], v[20:21]
	v_fma_f64 v[34:35], v[40:41], v[16:17], -v[48:49]
	v_fmac_f64_e32 v[50:51], v[42:43], v[16:17]
	v_add_f64 v[42:43], v[32:33], v[34:35]
	v_add_f64 v[44:45], v[46:47], -v[50:51]
	v_add_f64 v[48:49], v[38:39], v[46:47]
	v_add_f64 v[46:47], v[46:47], v[50:51]
	v_add_f64 v[40:41], v[36:37], v[32:33]
	v_add_f64 v[52:53], v[32:33], -v[34:35]
	v_fmac_f64_e32 v[36:37], -0.5, v[42:43]
	v_fmac_f64_e32 v[38:39], -0.5, v[46:47]
	v_add_f64 v[32:33], v[40:41], v[34:35]
	v_add_f64 v[34:35], v[48:49], v[50:51]
	v_fma_f64 v[40:41], s[4:5], v[44:45], v[36:37]
	v_fmac_f64_e32 v[36:37], s[6:7], v[44:45]
	v_fma_f64 v[42:43], s[6:7], v[52:53], v[38:39]
	v_fmac_f64_e32 v[38:39], s[4:5], v[52:53]
	ds_write_b128 v62, v[32:35]
	ds_write_b128 v62, v[40:43] offset:400
	ds_write_b128 v62, v[36:39] offset:800
	s_waitcnt lgkmcnt(0)
	s_barrier
	s_and_saveexec_b64 s[4:5], vcc
	s_cbranch_execz .LBB0_13
; %bb.12:
	global_load_dwordx4 v[44:47], v71, s[12:13] offset:1200
	s_add_u32 s6, s12, 0x4b0
	s_addc_u32 s7, s13, 0
	global_load_dwordx4 v[48:51], v71, s[6:7] offset:240
	global_load_dwordx4 v[52:55], v71, s[6:7] offset:480
	;; [unrolled: 1-line block ×4, first 2 shown]
	ds_read_b128 v[76:79], v62
	ds_read_b128 v[80:83], v62 offset:240
	ds_read_b128 v[84:87], v62 offset:480
	;; [unrolled: 1-line block ×4, first 2 shown]
	s_waitcnt vmcnt(4) lgkmcnt(4)
	v_mul_f64 v[68:69], v[78:79], v[46:47]
	v_mul_f64 v[98:99], v[76:77], v[46:47]
	v_fma_f64 v[96:97], v[76:77], v[44:45], -v[68:69]
	v_fmac_f64_e32 v[98:99], v[78:79], v[44:45]
	s_waitcnt vmcnt(3) lgkmcnt(3)
	v_mul_f64 v[44:45], v[82:83], v[50:51]
	v_mul_f64 v[46:47], v[80:81], v[50:51]
	s_waitcnt vmcnt(2) lgkmcnt(2)
	v_mul_f64 v[68:69], v[86:87], v[54:55]
	v_mul_f64 v[50:51], v[84:85], v[54:55]
	;; [unrolled: 3-line block ×4, first 2 shown]
	v_fma_f64 v[44:45], v[80:81], v[48:49], -v[44:45]
	v_fmac_f64_e32 v[46:47], v[82:83], v[48:49]
	ds_write_b128 v62, v[96:99]
	v_fma_f64 v[48:49], v[84:85], v[52:53], -v[68:69]
	v_fmac_f64_e32 v[50:51], v[86:87], v[52:53]
	v_fma_f64 v[52:53], v[88:89], v[56:57], -v[76:77]
	v_fmac_f64_e32 v[54:55], v[90:91], v[56:57]
	;; [unrolled: 2-line block ×3, first 2 shown]
	ds_write_b128 v62, v[44:47] offset:240
	ds_write_b128 v62, v[48:51] offset:480
	;; [unrolled: 1-line block ×4, first 2 shown]
.LBB0_13:
	s_or_b64 exec, exec, s[4:5]
	s_waitcnt lgkmcnt(0)
	s_barrier
	s_and_saveexec_b64 s[4:5], vcc
	s_cbranch_execz .LBB0_15
; %bb.14:
	ds_read_b128 v[32:35], v62
	ds_read_b128 v[40:43], v62 offset:240
	ds_read_b128 v[36:39], v62 offset:480
	;; [unrolled: 1-line block ×4, first 2 shown]
.LBB0_15:
	s_or_b64 exec, exec, s[4:5]
	s_waitcnt lgkmcnt(1)
	v_add_f64 v[46:47], v[36:37], v[24:25]
	s_mov_b32 s4, 0x134454ff
	v_fma_f64 v[52:53], -0.5, v[46:47], v[32:33]
	s_waitcnt lgkmcnt(0)
	v_add_f64 v[46:47], v[42:43], -v[30:31]
	s_mov_b32 s5, 0xbfee6f0e
	s_mov_b32 s6, 0x4755a5e
	;; [unrolled: 1-line block ×4, first 2 shown]
	v_fma_f64 v[48:49], s[4:5], v[46:47], v[52:53]
	v_add_f64 v[50:51], v[38:39], -v[26:27]
	s_mov_b32 s7, 0xbfe2cf23
	v_add_f64 v[54:55], v[40:41], -v[36:37]
	v_add_f64 v[56:57], v[28:29], -v[24:25]
	v_fmac_f64_e32 v[52:53], s[14:15], v[46:47]
	s_mov_b32 s17, 0x3fe2cf23
	s_mov_b32 s16, s6
	v_fmac_f64_e32 v[48:49], s[6:7], v[50:51]
	v_add_f64 v[54:55], v[54:55], v[56:57]
	v_fmac_f64_e32 v[52:53], s[16:17], v[50:51]
	v_fmac_f64_e32 v[48:49], s[10:11], v[54:55]
	;; [unrolled: 1-line block ×3, first 2 shown]
	v_add_f64 v[54:55], v[40:41], v[28:29]
	v_add_f64 v[44:45], v[32:33], v[40:41]
	v_fmac_f64_e32 v[32:33], -0.5, v[54:55]
	v_add_f64 v[44:45], v[44:45], v[36:37]
	v_fma_f64 v[56:57], s[14:15], v[50:51], v[32:33]
	v_add_f64 v[54:55], v[36:37], -v[40:41]
	v_add_f64 v[58:59], v[24:25], -v[28:29]
	v_fmac_f64_e32 v[32:33], s[4:5], v[50:51]
	v_add_f64 v[44:45], v[44:45], v[24:25]
	v_fmac_f64_e32 v[56:57], s[6:7], v[46:47]
	v_add_f64 v[54:55], v[54:55], v[58:59]
	;; [unrolled: 2-line block ×3, first 2 shown]
	v_add_f64 v[44:45], v[44:45], v[28:29]
	v_fmac_f64_e32 v[56:57], s[10:11], v[54:55]
	v_fmac_f64_e32 v[32:33], s[10:11], v[54:55]
	v_fma_f64 v[54:55], -0.5, v[50:51], v[34:35]
	v_add_f64 v[28:29], v[40:41], -v[28:29]
	v_fma_f64 v[50:51], s[14:15], v[28:29], v[54:55]
	v_add_f64 v[24:25], v[36:37], -v[24:25]
	v_add_f64 v[36:37], v[42:43], -v[38:39]
	;; [unrolled: 1-line block ×3, first 2 shown]
	v_fmac_f64_e32 v[54:55], s[4:5], v[28:29]
	v_fmac_f64_e32 v[50:51], s[16:17], v[24:25]
	v_add_f64 v[36:37], v[36:37], v[40:41]
	v_fmac_f64_e32 v[54:55], s[6:7], v[24:25]
	v_add_f64 v[46:47], v[34:35], v[42:43]
	v_fmac_f64_e32 v[50:51], s[10:11], v[36:37]
	v_fmac_f64_e32 v[54:55], s[10:11], v[36:37]
	v_add_f64 v[36:37], v[42:43], v[30:31]
	v_add_f64 v[46:47], v[46:47], v[38:39]
	v_fmac_f64_e32 v[34:35], -0.5, v[36:37]
	v_add_f64 v[46:47], v[46:47], v[26:27]
	v_fma_f64 v[58:59], s[4:5], v[24:25], v[34:35]
	v_add_f64 v[36:37], v[38:39], -v[42:43]
	v_add_f64 v[26:27], v[26:27], -v[30:31]
	v_fmac_f64_e32 v[34:35], s[14:15], v[24:25]
	v_fmac_f64_e32 v[58:59], s[16:17], v[28:29]
	v_add_f64 v[26:27], v[36:37], v[26:27]
	v_fmac_f64_e32 v[34:35], s[6:7], v[28:29]
	v_add_f64 v[46:47], v[46:47], v[30:31]
	v_fmac_f64_e32 v[58:59], s[10:11], v[26:27]
	v_fmac_f64_e32 v[34:35], s[10:11], v[26:27]
	s_barrier
	s_and_saveexec_b64 s[4:5], vcc
	s_cbranch_execz .LBB0_17
; %bb.16:
	v_lshl_add_u32 v24, v75, 4, v72
	ds_write_b128 v24, v[44:47]
	ds_write_b128 v24, v[48:51] offset:16
	ds_write_b128 v24, v[56:59] offset:32
	;; [unrolled: 1-line block ×4, first 2 shown]
.LBB0_17:
	s_or_b64 exec, exec, s[4:5]
	s_waitcnt lgkmcnt(0)
	s_barrier
	s_and_saveexec_b64 s[4:5], vcc
	s_cbranch_execz .LBB0_19
; %bb.18:
	ds_read_b128 v[44:47], v73
	ds_read_b128 v[48:51], v73 offset:240
	ds_read_b128 v[56:59], v73 offset:480
	;; [unrolled: 1-line block ×4, first 2 shown]
.LBB0_19:
	s_or_b64 exec, exec, s[4:5]
	s_waitcnt lgkmcnt(0)
	s_barrier
	s_and_saveexec_b64 s[4:5], vcc
	s_cbranch_execz .LBB0_21
; %bb.20:
	v_mul_f64 v[30:31], v[10:11], v[32:33]
	v_mul_f64 v[26:27], v[6:7], v[48:49]
	v_fma_f64 v[36:37], v[8:9], v[34:35], -v[30:31]
	v_mul_f64 v[30:31], v[2:3], v[52:53]
	v_mul_f64 v[34:35], v[10:11], v[34:35]
	;; [unrolled: 1-line block ×3, first 2 shown]
	v_fma_f64 v[28:29], v[4:5], v[50:51], -v[26:27]
	v_fma_f64 v[38:39], v[0:1], v[54:55], -v[30:31]
	v_mul_f64 v[14:15], v[14:15], v[58:59]
	v_fmac_f64_e32 v[34:35], v[8:9], v[32:33]
	v_mul_f64 v[32:33], v[6:7], v[50:51]
	v_fma_f64 v[24:25], v[12:13], v[58:59], -v[24:25]
	v_fmac_f64_e32 v[14:15], v[12:13], v[56:57]
	v_add_f64 v[8:9], v[28:29], v[38:39]
	s_mov_b32 s6, 0x134454ff
	v_fmac_f64_e32 v[32:33], v[4:5], v[48:49]
	v_mul_f64 v[4:5], v[2:3], v[54:55]
	v_add_f64 v[10:11], v[14:15], -v[34:35]
	v_fma_f64 v[8:9], -0.5, v[8:9], v[46:47]
	s_mov_b32 s7, 0x3fee6f0e
	v_fmac_f64_e32 v[4:5], v[0:1], v[52:53]
	s_mov_b32 s10, 0x4755a5e
	s_mov_b32 s17, 0xbfee6f0e
	;; [unrolled: 1-line block ×3, first 2 shown]
	v_add_f64 v[2:3], v[28:29], -v[24:25]
	v_add_f64 v[6:7], v[38:39], -v[36:37]
	;; [unrolled: 1-line block ×4, first 2 shown]
	v_fma_f64 v[12:13], s[6:7], v[10:11], v[8:9]
	v_add_f64 v[0:1], v[32:33], -v[4:5]
	s_mov_b32 s11, 0xbfe2cf23
	s_mov_b32 s14, 0x372fe950
	v_fmac_f64_e32 v[8:9], s[16:17], v[10:11]
	s_mov_b32 s19, 0x3fe2cf23
	s_mov_b32 s18, s10
	v_add_f64 v[6:7], v[2:3], v[6:7]
	v_add_f64 v[2:3], v[24:25], v[36:37]
	;; [unrolled: 1-line block ×3, first 2 shown]
	v_fmac_f64_e32 v[12:13], s[10:11], v[0:1]
	s_mov_b32 s15, 0x3fd3c6ef
	v_fmac_f64_e32 v[8:9], s[18:19], v[0:1]
	v_fma_f64 v[2:3], -0.5, v[2:3], v[46:47]
	v_fmac_f64_e32 v[12:13], s[14:15], v[26:27]
	v_fmac_f64_e32 v[8:9], s[14:15], v[26:27]
	v_fma_f64 v[26:27], s[16:17], v[0:1], v[2:3]
	v_fmac_f64_e32 v[2:3], s[6:7], v[0:1]
	v_add_f64 v[0:1], v[46:47], v[28:29]
	v_add_f64 v[0:1], v[0:1], v[24:25]
	v_fmac_f64_e32 v[26:27], s[10:11], v[10:11]
	v_fmac_f64_e32 v[2:3], s[18:19], v[10:11]
	v_add_f64 v[0:1], v[0:1], v[36:37]
	v_fmac_f64_e32 v[26:27], s[14:15], v[6:7]
	v_fmac_f64_e32 v[2:3], s[14:15], v[6:7]
	v_add_f64 v[30:31], v[0:1], v[38:39]
	v_add_f64 v[0:1], v[14:15], -v[32:33]
	v_add_f64 v[6:7], v[34:35], -v[4:5]
	v_add_f64 v[0:1], v[0:1], v[6:7]
	v_add_f64 v[6:7], v[32:33], v[4:5]
	v_fma_f64 v[6:7], -0.5, v[6:7], v[44:45]
	v_add_f64 v[36:37], v[24:25], -v[36:37]
	v_add_f64 v[28:29], v[28:29], -v[38:39]
	v_fma_f64 v[10:11], s[16:17], v[36:37], v[6:7]
	v_fmac_f64_e32 v[6:7], s[6:7], v[36:37]
	v_fmac_f64_e32 v[10:11], s[18:19], v[28:29]
	;; [unrolled: 1-line block ×5, first 2 shown]
	v_add_f64 v[0:1], v[32:33], -v[14:15]
	v_add_f64 v[24:25], v[4:5], -v[34:35]
	v_add_f64 v[38:39], v[0:1], v[24:25]
	v_add_f64 v[0:1], v[14:15], v[34:35]
	v_fma_f64 v[0:1], -0.5, v[0:1], v[44:45]
	v_fma_f64 v[24:25], s[6:7], v[28:29], v[0:1]
	v_fmac_f64_e32 v[0:1], s[16:17], v[28:29]
	v_add_f64 v[28:29], v[44:45], v[32:33]
	v_add_f64 v[14:15], v[28:29], v[14:15]
	;; [unrolled: 1-line block ×4, first 2 shown]
	v_and_b32_e32 v4, 0xff, v74
	v_fmac_f64_e32 v[24:25], s[18:19], v[36:37]
	v_fmac_f64_e32 v[0:1], s[10:11], v[36:37]
	v_lshl_add_u32 v4, v4, 4, v72
	v_fmac_f64_e32 v[24:25], s[14:15], v[38:39]
	v_fmac_f64_e32 v[0:1], s[14:15], v[38:39]
	ds_write_b128 v4, v[28:31]
	ds_write_b128 v4, v[0:3] offset:80
	ds_write_b128 v4, v[6:9] offset:160
	;; [unrolled: 1-line block ×4, first 2 shown]
.LBB0_21:
	s_or_b64 exec, exec, s[4:5]
	s_waitcnt lgkmcnt(0)
	s_barrier
	ds_read_b128 v[0:3], v73 offset:400
	ds_read_b128 v[4:7], v73
	ds_read_b128 v[8:11], v73 offset:800
	s_mov_b32 s4, 0xe8584caa
	s_mov_b32 s5, 0xbfebb67a
	s_waitcnt lgkmcnt(2)
	v_mul_f64 v[12:13], v[22:23], v[2:3]
	v_fmac_f64_e32 v[12:13], v[20:21], v[0:1]
	v_mul_f64 v[0:1], v[22:23], v[0:1]
	v_fma_f64 v[14:15], v[20:21], v[2:3], -v[0:1]
	s_waitcnt lgkmcnt(0)
	v_mul_f64 v[20:21], v[18:19], v[10:11]
	v_fmac_f64_e32 v[20:21], v[16:17], v[8:9]
	v_mul_f64 v[0:1], v[18:19], v[8:9]
	v_fma_f64 v[10:11], v[16:17], v[10:11], -v[0:1]
	v_add_f64 v[2:3], v[12:13], v[20:21]
	v_add_f64 v[0:1], v[4:5], v[12:13]
	v_fmac_f64_e32 v[4:5], -0.5, v[2:3]
	v_add_f64 v[2:3], v[14:15], -v[10:11]
	s_mov_b32 s7, 0x3febb67a
	s_mov_b32 s6, s4
	v_fma_f64 v[8:9], s[4:5], v[2:3], v[4:5]
	v_fmac_f64_e32 v[4:5], s[6:7], v[2:3]
	v_add_f64 v[2:3], v[6:7], v[14:15]
	v_add_f64 v[2:3], v[2:3], v[10:11]
	v_add_f64 v[10:11], v[14:15], v[10:11]
	v_add_f64 v[0:1], v[0:1], v[20:21]
	v_fmac_f64_e32 v[6:7], -0.5, v[10:11]
	v_add_f64 v[12:13], v[12:13], -v[20:21]
	v_fma_f64 v[10:11], s[6:7], v[12:13], v[6:7]
	v_fmac_f64_e32 v[6:7], s[4:5], v[12:13]
	ds_write_b128 v62, v[0:3]
	ds_write_b128 v62, v[8:11] offset:400
	ds_write_b128 v62, v[4:7] offset:800
	s_waitcnt lgkmcnt(0)
	s_barrier
	s_and_b64 exec, exec, vcc
	s_cbranch_execz .LBB0_23
; %bb.22:
	global_load_dwordx4 v[0:3], v71, s[12:13]
	global_load_dwordx4 v[4:7], v71, s[12:13] offset:240
	global_load_dwordx4 v[8:11], v71, s[12:13] offset:480
	global_load_dwordx4 v[12:15], v71, s[12:13] offset:720
	global_load_dwordx4 v[16:19], v71, s[12:13] offset:960
	v_mad_u64_u32 v[42:43], s[4:5], s2, v60, 0
	v_mad_u64_u32 v[44:45], s[6:7], s0, v61, 0
	v_mov_b32_e32 v46, v43
	v_mov_b32_e32 v48, v45
	v_mad_u64_u32 v[46:47], s[2:3], s3, v60, v[46:47]
	v_mov_b32_e32 v40, s8
	v_mov_b32_e32 v41, s9
	;; [unrolled: 3-line block ×3, first 2 shown]
	v_lshl_add_u64 v[40:41], v[42:43], 4, v[40:41]
	v_mov_b32_e32 v50, 0xf0
	v_lshl_add_u64 v[40:41], v[44:45], 4, v[40:41]
	s_mul_i32 s6, s1, 0xf0
	v_mad_u64_u32 v[42:43], s[2:3], s0, v50, v[40:41]
	v_lshl_add_u32 v36, v70, 4, v71
	v_add_u32_e32 v43, s6, v43
	ds_read_b128 v[20:23], v62
	ds_read_b128 v[24:27], v36 offset:240
	ds_read_b128 v[28:31], v36 offset:480
	;; [unrolled: 1-line block ×4, first 2 shown]
	v_mad_u64_u32 v[44:45], s[2:3], s0, v50, v[42:43]
	v_add_u32_e32 v45, s6, v45
	v_mad_u64_u32 v[46:47], s[2:3], s0, v50, v[44:45]
	v_add_u32_e32 v47, s6, v47
	s_mov_b32 s4, 0xb4e81b4f
	v_mad_u64_u32 v[48:49], s[0:1], s0, v50, v[46:47]
	s_mov_b32 s5, 0x3f8b4e81
	v_add_u32_e32 v49, s6, v49
	s_waitcnt vmcnt(4) lgkmcnt(4)
	v_mul_f64 v[50:51], v[22:23], v[2:3]
	v_mul_f64 v[2:3], v[20:21], v[2:3]
	s_waitcnt vmcnt(3) lgkmcnt(3)
	v_mul_f64 v[52:53], v[26:27], v[6:7]
	v_mul_f64 v[6:7], v[24:25], v[6:7]
	s_waitcnt vmcnt(2) lgkmcnt(2)
	v_mul_f64 v[54:55], v[30:31], v[10:11]
	v_mul_f64 v[10:11], v[28:29], v[10:11]
	s_waitcnt vmcnt(1) lgkmcnt(1)
	v_mul_f64 v[56:57], v[34:35], v[14:15]
	v_mul_f64 v[14:15], v[32:33], v[14:15]
	s_waitcnt vmcnt(0) lgkmcnt(0)
	v_mul_f64 v[58:59], v[38:39], v[18:19]
	v_mul_f64 v[18:19], v[36:37], v[18:19]
	v_fmac_f64_e32 v[50:51], v[20:21], v[0:1]
	v_fma_f64 v[2:3], v[0:1], v[22:23], -v[2:3]
	v_fmac_f64_e32 v[52:53], v[24:25], v[4:5]
	v_fma_f64 v[6:7], v[4:5], v[26:27], -v[6:7]
	;; [unrolled: 2-line block ×5, first 2 shown]
	v_mul_f64 v[0:1], v[50:51], s[4:5]
	v_mul_f64 v[2:3], v[2:3], s[4:5]
	;; [unrolled: 1-line block ×10, first 2 shown]
	global_store_dwordx4 v[40:41], v[0:3], off
	global_store_dwordx4 v[42:43], v[4:7], off
	;; [unrolled: 1-line block ×5, first 2 shown]
.LBB0_23:
	s_endpgm
	.section	.rodata,"a",@progbits
	.p2align	6, 0x0
	.amdhsa_kernel bluestein_single_fwd_len75_dim1_dp_op_CI_CI
		.amdhsa_group_segment_fixed_size 12000
		.amdhsa_private_segment_fixed_size 0
		.amdhsa_kernarg_size 104
		.amdhsa_user_sgpr_count 2
		.amdhsa_user_sgpr_dispatch_ptr 0
		.amdhsa_user_sgpr_queue_ptr 0
		.amdhsa_user_sgpr_kernarg_segment_ptr 1
		.amdhsa_user_sgpr_dispatch_id 0
		.amdhsa_user_sgpr_kernarg_preload_length 0
		.amdhsa_user_sgpr_kernarg_preload_offset 0
		.amdhsa_user_sgpr_private_segment_size 0
		.amdhsa_uses_dynamic_stack 0
		.amdhsa_enable_private_segment 0
		.amdhsa_system_sgpr_workgroup_id_x 1
		.amdhsa_system_sgpr_workgroup_id_y 0
		.amdhsa_system_sgpr_workgroup_id_z 0
		.amdhsa_system_sgpr_workgroup_info 0
		.amdhsa_system_vgpr_workitem_id 0
		.amdhsa_next_free_vgpr 100
		.amdhsa_next_free_sgpr 20
		.amdhsa_accum_offset 100
		.amdhsa_reserve_vcc 1
		.amdhsa_float_round_mode_32 0
		.amdhsa_float_round_mode_16_64 0
		.amdhsa_float_denorm_mode_32 3
		.amdhsa_float_denorm_mode_16_64 3
		.amdhsa_dx10_clamp 1
		.amdhsa_ieee_mode 1
		.amdhsa_fp16_overflow 0
		.amdhsa_tg_split 0
		.amdhsa_exception_fp_ieee_invalid_op 0
		.amdhsa_exception_fp_denorm_src 0
		.amdhsa_exception_fp_ieee_div_zero 0
		.amdhsa_exception_fp_ieee_overflow 0
		.amdhsa_exception_fp_ieee_underflow 0
		.amdhsa_exception_fp_ieee_inexact 0
		.amdhsa_exception_int_div_zero 0
	.end_amdhsa_kernel
	.text
.Lfunc_end0:
	.size	bluestein_single_fwd_len75_dim1_dp_op_CI_CI, .Lfunc_end0-bluestein_single_fwd_len75_dim1_dp_op_CI_CI
                                        ; -- End function
	.section	.AMDGPU.csdata,"",@progbits
; Kernel info:
; codeLenInByte = 4688
; NumSgprs: 26
; NumVgprs: 100
; NumAgprs: 0
; TotalNumVgprs: 100
; ScratchSize: 0
; MemoryBound: 0
; FloatMode: 240
; IeeeMode: 1
; LDSByteSize: 12000 bytes/workgroup (compile time only)
; SGPRBlocks: 3
; VGPRBlocks: 12
; NumSGPRsForWavesPerEU: 26
; NumVGPRsForWavesPerEU: 100
; AccumOffset: 100
; Occupancy: 4
; WaveLimiterHint : 1
; COMPUTE_PGM_RSRC2:SCRATCH_EN: 0
; COMPUTE_PGM_RSRC2:USER_SGPR: 2
; COMPUTE_PGM_RSRC2:TRAP_HANDLER: 0
; COMPUTE_PGM_RSRC2:TGID_X_EN: 1
; COMPUTE_PGM_RSRC2:TGID_Y_EN: 0
; COMPUTE_PGM_RSRC2:TGID_Z_EN: 0
; COMPUTE_PGM_RSRC2:TIDIG_COMP_CNT: 0
; COMPUTE_PGM_RSRC3_GFX90A:ACCUM_OFFSET: 24
; COMPUTE_PGM_RSRC3_GFX90A:TG_SPLIT: 0
	.text
	.p2alignl 6, 3212836864
	.fill 256, 4, 3212836864
	.type	__hip_cuid_f8b6abaa377e0ca3,@object ; @__hip_cuid_f8b6abaa377e0ca3
	.section	.bss,"aw",@nobits
	.globl	__hip_cuid_f8b6abaa377e0ca3
__hip_cuid_f8b6abaa377e0ca3:
	.byte	0                               ; 0x0
	.size	__hip_cuid_f8b6abaa377e0ca3, 1

	.ident	"AMD clang version 19.0.0git (https://github.com/RadeonOpenCompute/llvm-project roc-6.4.0 25133 c7fe45cf4b819c5991fe208aaa96edf142730f1d)"
	.section	".note.GNU-stack","",@progbits
	.addrsig
	.addrsig_sym __hip_cuid_f8b6abaa377e0ca3
	.amdgpu_metadata
---
amdhsa.kernels:
  - .agpr_count:     0
    .args:
      - .actual_access:  read_only
        .address_space:  global
        .offset:         0
        .size:           8
        .value_kind:     global_buffer
      - .actual_access:  read_only
        .address_space:  global
        .offset:         8
        .size:           8
        .value_kind:     global_buffer
      - .actual_access:  read_only
        .address_space:  global
        .offset:         16
        .size:           8
        .value_kind:     global_buffer
      - .actual_access:  read_only
        .address_space:  global
        .offset:         24
        .size:           8
        .value_kind:     global_buffer
      - .actual_access:  read_only
        .address_space:  global
        .offset:         32
        .size:           8
        .value_kind:     global_buffer
      - .offset:         40
        .size:           8
        .value_kind:     by_value
      - .address_space:  global
        .offset:         48
        .size:           8
        .value_kind:     global_buffer
      - .address_space:  global
        .offset:         56
        .size:           8
        .value_kind:     global_buffer
      - .address_space:  global
        .offset:         64
        .size:           8
        .value_kind:     global_buffer
      - .address_space:  global
        .offset:         72
        .size:           8
        .value_kind:     global_buffer
      - .offset:         80
        .size:           4
        .value_kind:     by_value
      - .address_space:  global
        .offset:         88
        .size:           8
        .value_kind:     global_buffer
      - .address_space:  global
        .offset:         96
        .size:           8
        .value_kind:     global_buffer
    .group_segment_fixed_size: 12000
    .kernarg_segment_align: 8
    .kernarg_segment_size: 104
    .language:       OpenCL C
    .language_version:
      - 2
      - 0
    .max_flat_workgroup_size: 250
    .name:           bluestein_single_fwd_len75_dim1_dp_op_CI_CI
    .private_segment_fixed_size: 0
    .sgpr_count:     26
    .sgpr_spill_count: 0
    .symbol:         bluestein_single_fwd_len75_dim1_dp_op_CI_CI.kd
    .uniform_work_group_size: 1
    .uses_dynamic_stack: false
    .vgpr_count:     100
    .vgpr_spill_count: 0
    .wavefront_size: 64
amdhsa.target:   amdgcn-amd-amdhsa--gfx950
amdhsa.version:
  - 1
  - 2
...

	.end_amdgpu_metadata
